;; amdgpu-corpus repo=ROCm/rocFFT kind=compiled arch=gfx950 opt=O3
	.text
	.amdgcn_target "amdgcn-amd-amdhsa--gfx950"
	.amdhsa_code_object_version 6
	.protected	fft_rtc_back_len1500_factors_5_10_10_3_wgs_150_tpt_150_halfLds_sp_ip_CI_unitstride_sbrr_R2C_dirReg ; -- Begin function fft_rtc_back_len1500_factors_5_10_10_3_wgs_150_tpt_150_halfLds_sp_ip_CI_unitstride_sbrr_R2C_dirReg
	.globl	fft_rtc_back_len1500_factors_5_10_10_3_wgs_150_tpt_150_halfLds_sp_ip_CI_unitstride_sbrr_R2C_dirReg
	.p2align	8
	.type	fft_rtc_back_len1500_factors_5_10_10_3_wgs_150_tpt_150_halfLds_sp_ip_CI_unitstride_sbrr_R2C_dirReg,@function
fft_rtc_back_len1500_factors_5_10_10_3_wgs_150_tpt_150_halfLds_sp_ip_CI_unitstride_sbrr_R2C_dirReg: ; @fft_rtc_back_len1500_factors_5_10_10_3_wgs_150_tpt_150_halfLds_sp_ip_CI_unitstride_sbrr_R2C_dirReg
; %bb.0:
	s_load_dwordx2 s[8:9], s[0:1], 0x50
	s_load_dwordx4 s[4:7], s[0:1], 0x0
	s_load_dwordx2 s[10:11], s[0:1], 0x18
	v_mul_u32_u24_e32 v1, 0x1b5, v0
	v_add_u32_sdwa v6, s2, v1 dst_sel:DWORD dst_unused:UNUSED_PAD src0_sel:DWORD src1_sel:WORD_1
	v_mov_b32_e32 v4, 0
	s_waitcnt lgkmcnt(0)
	v_cmp_lt_u64_e64 s[2:3], s[6:7], 2
	v_mov_b32_e32 v7, v4
	s_and_b64 vcc, exec, s[2:3]
	v_mov_b64_e32 v[2:3], 0
	s_cbranch_vccnz .LBB0_8
; %bb.1:
	s_load_dwordx2 s[2:3], s[0:1], 0x10
	s_add_u32 s12, s10, 8
	s_addc_u32 s13, s11, 0
	s_mov_b64 s[14:15], 1
	v_mov_b64_e32 v[2:3], 0
	s_waitcnt lgkmcnt(0)
	s_add_u32 s16, s2, 8
	s_addc_u32 s17, s3, 0
.LBB0_2:                                ; =>This Inner Loop Header: Depth=1
	s_load_dwordx2 s[18:19], s[16:17], 0x0
                                        ; implicit-def: $vgpr8_vgpr9
	s_waitcnt lgkmcnt(0)
	v_or_b32_e32 v5, s19, v7
	v_cmp_ne_u64_e32 vcc, 0, v[4:5]
	s_and_saveexec_b64 s[2:3], vcc
	s_xor_b64 s[20:21], exec, s[2:3]
	s_cbranch_execz .LBB0_4
; %bb.3:                                ;   in Loop: Header=BB0_2 Depth=1
	v_cvt_f32_u32_e32 v1, s18
	v_cvt_f32_u32_e32 v5, s19
	s_sub_u32 s2, 0, s18
	s_subb_u32 s3, 0, s19
	v_fmac_f32_e32 v1, 0x4f800000, v5
	v_rcp_f32_e32 v1, v1
	s_nop 0
	v_mul_f32_e32 v1, 0x5f7ffffc, v1
	v_mul_f32_e32 v5, 0x2f800000, v1
	v_trunc_f32_e32 v5, v5
	v_fmac_f32_e32 v1, 0xcf800000, v5
	v_cvt_u32_f32_e32 v5, v5
	v_cvt_u32_f32_e32 v1, v1
	v_mul_lo_u32 v8, s2, v5
	v_mul_hi_u32 v10, s2, v1
	v_mul_lo_u32 v9, s3, v1
	v_add_u32_e32 v10, v10, v8
	v_mul_lo_u32 v12, s2, v1
	v_add_u32_e32 v13, v10, v9
	v_mul_hi_u32 v8, v1, v12
	v_mul_hi_u32 v11, v1, v13
	v_mul_lo_u32 v10, v1, v13
	v_mov_b32_e32 v9, v4
	v_lshl_add_u64 v[8:9], v[8:9], 0, v[10:11]
	v_mul_hi_u32 v11, v5, v12
	v_mul_lo_u32 v12, v5, v12
	v_add_co_u32_e32 v8, vcc, v8, v12
	v_mul_hi_u32 v10, v5, v13
	s_nop 0
	v_addc_co_u32_e32 v8, vcc, v9, v11, vcc
	v_mov_b32_e32 v9, v4
	s_nop 0
	v_addc_co_u32_e32 v11, vcc, 0, v10, vcc
	v_mul_lo_u32 v10, v5, v13
	v_lshl_add_u64 v[8:9], v[8:9], 0, v[10:11]
	v_add_co_u32_e32 v1, vcc, v1, v8
	v_mul_lo_u32 v10, s2, v1
	s_nop 0
	v_addc_co_u32_e32 v5, vcc, v5, v9, vcc
	v_mul_lo_u32 v8, s2, v5
	v_mul_hi_u32 v9, s2, v1
	v_add_u32_e32 v8, v9, v8
	v_mul_lo_u32 v9, s3, v1
	v_add_u32_e32 v12, v8, v9
	v_mul_hi_u32 v14, v5, v10
	v_mul_lo_u32 v15, v5, v10
	v_mul_hi_u32 v9, v1, v12
	v_mul_lo_u32 v8, v1, v12
	v_mul_hi_u32 v10, v1, v10
	v_mov_b32_e32 v11, v4
	v_lshl_add_u64 v[8:9], v[10:11], 0, v[8:9]
	v_add_co_u32_e32 v8, vcc, v8, v15
	v_mul_hi_u32 v13, v5, v12
	s_nop 0
	v_addc_co_u32_e32 v8, vcc, v9, v14, vcc
	v_mul_lo_u32 v10, v5, v12
	s_nop 0
	v_addc_co_u32_e32 v11, vcc, 0, v13, vcc
	v_mov_b32_e32 v9, v4
	v_lshl_add_u64 v[8:9], v[8:9], 0, v[10:11]
	v_add_co_u32_e32 v1, vcc, v1, v8
	v_mul_hi_u32 v10, v6, v1
	s_nop 0
	v_addc_co_u32_e32 v5, vcc, v5, v9, vcc
	v_mad_u64_u32 v[8:9], s[2:3], v6, v5, 0
	v_mov_b32_e32 v11, v4
	v_lshl_add_u64 v[8:9], v[10:11], 0, v[8:9]
	v_mad_u64_u32 v[12:13], s[2:3], v7, v1, 0
	v_add_co_u32_e32 v1, vcc, v8, v12
	v_mad_u64_u32 v[10:11], s[2:3], v7, v5, 0
	s_nop 0
	v_addc_co_u32_e32 v8, vcc, v9, v13, vcc
	v_mov_b32_e32 v9, v4
	s_nop 0
	v_addc_co_u32_e32 v11, vcc, 0, v11, vcc
	v_lshl_add_u64 v[8:9], v[8:9], 0, v[10:11]
	v_mul_lo_u32 v1, s19, v8
	v_mul_lo_u32 v5, s18, v9
	v_mad_u64_u32 v[10:11], s[2:3], s18, v8, 0
	v_add3_u32 v1, v11, v5, v1
	v_sub_u32_e32 v5, v7, v1
	v_mov_b32_e32 v11, s19
	v_sub_co_u32_e32 v14, vcc, v6, v10
	v_lshl_add_u64 v[12:13], v[8:9], 0, 1
	s_nop 0
	v_subb_co_u32_e64 v5, s[2:3], v5, v11, vcc
	v_subrev_co_u32_e64 v10, s[2:3], s18, v14
	v_subb_co_u32_e32 v1, vcc, v7, v1, vcc
	s_nop 0
	v_subbrev_co_u32_e64 v5, s[2:3], 0, v5, s[2:3]
	v_cmp_le_u32_e64 s[2:3], s19, v5
	v_cmp_le_u32_e32 vcc, s19, v1
	s_nop 0
	v_cndmask_b32_e64 v11, 0, -1, s[2:3]
	v_cmp_le_u32_e64 s[2:3], s18, v10
	s_nop 1
	v_cndmask_b32_e64 v10, 0, -1, s[2:3]
	v_cmp_eq_u32_e64 s[2:3], s19, v5
	s_nop 1
	v_cndmask_b32_e64 v5, v11, v10, s[2:3]
	v_lshl_add_u64 v[10:11], v[8:9], 0, 2
	v_cmp_ne_u32_e64 s[2:3], 0, v5
	s_nop 1
	v_cndmask_b32_e64 v5, v13, v11, s[2:3]
	v_cndmask_b32_e64 v11, 0, -1, vcc
	v_cmp_le_u32_e32 vcc, s18, v14
	s_nop 1
	v_cndmask_b32_e64 v13, 0, -1, vcc
	v_cmp_eq_u32_e32 vcc, s19, v1
	s_nop 1
	v_cndmask_b32_e32 v1, v11, v13, vcc
	v_cmp_ne_u32_e32 vcc, 0, v1
	v_cndmask_b32_e64 v1, v12, v10, s[2:3]
	s_nop 0
	v_cndmask_b32_e32 v9, v9, v5, vcc
	v_cndmask_b32_e32 v8, v8, v1, vcc
.LBB0_4:                                ;   in Loop: Header=BB0_2 Depth=1
	s_andn2_saveexec_b64 s[2:3], s[20:21]
	s_cbranch_execz .LBB0_6
; %bb.5:                                ;   in Loop: Header=BB0_2 Depth=1
	v_cvt_f32_u32_e32 v1, s18
	s_sub_i32 s20, 0, s18
	v_rcp_iflag_f32_e32 v1, v1
	s_nop 0
	v_mul_f32_e32 v1, 0x4f7ffffe, v1
	v_cvt_u32_f32_e32 v1, v1
	v_mul_lo_u32 v5, s20, v1
	v_mul_hi_u32 v5, v1, v5
	v_add_u32_e32 v1, v1, v5
	v_mul_hi_u32 v1, v6, v1
	v_mul_lo_u32 v5, v1, s18
	v_sub_u32_e32 v5, v6, v5
	v_add_u32_e32 v8, 1, v1
	v_subrev_u32_e32 v9, s18, v5
	v_cmp_le_u32_e32 vcc, s18, v5
	s_nop 1
	v_cndmask_b32_e32 v5, v5, v9, vcc
	v_cndmask_b32_e32 v1, v1, v8, vcc
	v_add_u32_e32 v8, 1, v1
	v_cmp_le_u32_e32 vcc, s18, v5
	v_mov_b32_e32 v9, v4
	s_nop 0
	v_cndmask_b32_e32 v8, v1, v8, vcc
.LBB0_6:                                ;   in Loop: Header=BB0_2 Depth=1
	s_or_b64 exec, exec, s[2:3]
	v_mad_u64_u32 v[10:11], s[2:3], v8, s18, 0
	s_load_dwordx2 s[2:3], s[12:13], 0x0
	v_mul_lo_u32 v1, v9, s18
	v_mul_lo_u32 v5, v8, s19
	v_add3_u32 v1, v11, v5, v1
	v_sub_co_u32_e32 v5, vcc, v6, v10
	s_add_u32 s14, s14, 1
	s_nop 0
	v_subb_co_u32_e32 v1, vcc, v7, v1, vcc
	s_addc_u32 s15, s15, 0
	s_waitcnt lgkmcnt(0)
	v_mul_lo_u32 v1, s2, v1
	v_mul_lo_u32 v6, s3, v5
	v_mad_u64_u32 v[2:3], s[2:3], s2, v5, v[2:3]
	s_add_u32 s12, s12, 8
	v_add3_u32 v3, v6, v3, v1
	s_addc_u32 s13, s13, 0
	v_mov_b64_e32 v[6:7], s[6:7]
	s_add_u32 s16, s16, 8
	v_cmp_ge_u64_e32 vcc, s[14:15], v[6:7]
	s_addc_u32 s17, s17, 0
	s_cbranch_vccnz .LBB0_9
; %bb.7:                                ;   in Loop: Header=BB0_2 Depth=1
	v_mov_b64_e32 v[6:7], v[8:9]
	s_branch .LBB0_2
.LBB0_8:
	v_mov_b64_e32 v[8:9], v[6:7]
.LBB0_9:
	s_lshl_b64 s[2:3], s[6:7], 3
	s_add_u32 s2, s10, s2
	s_addc_u32 s3, s11, s3
	s_load_dwordx2 s[6:7], s[2:3], 0x0
	s_load_dwordx2 s[10:11], s[0:1], 0x20
	s_mov_b32 s2, 0x1b4e81c
                                        ; implicit-def: $vgpr16
                                        ; implicit-def: $vgpr20
                                        ; implicit-def: $vgpr18
	s_waitcnt lgkmcnt(0)
	v_mul_lo_u32 v1, s6, v9
	v_mul_lo_u32 v4, s7, v8
	v_mad_u64_u32 v[2:3], s[0:1], s6, v8, v[2:3]
	v_add3_u32 v3, v4, v3, v1
	v_mul_hi_u32 v1, v0, s2
	v_mul_u32_u24_e32 v1, 0x96, v1
	v_cmp_gt_u64_e64 s[0:1], s[10:11], v[8:9]
	v_cmp_le_u64_e32 vcc, s[10:11], v[8:9]
	v_sub_u32_e32 v12, v0, v1
	s_and_saveexec_b64 s[2:3], vcc
	s_xor_b64 s[2:3], exec, s[2:3]
; %bb.10:
	v_add_u32_e32 v16, 0x96, v12
	v_add_u32_e32 v20, 0x12c, v12
	;; [unrolled: 1-line block ×3, first 2 shown]
; %bb.11:
	s_or_saveexec_b64 s[2:3], s[2:3]
	v_lshl_add_u64 v[14:15], v[2:3], 3, s[8:9]
	v_lshl_add_u32 v36, v12, 3, 0
	s_xor_b64 exec, exec, s[2:3]
	s_cbranch_execz .LBB0_13
; %bb.12:
	v_mov_b32_e32 v13, 0
	v_lshl_add_u64 v[0:1], v[12:13], 3, v[14:15]
	s_movk_i32 s6, 0x1000
	v_add_co_u32_e32 v10, vcc, s6, v0
	global_load_dwordx2 v[2:3], v[0:1], off
	global_load_dwordx2 v[4:5], v[0:1], off offset:1200
	global_load_dwordx2 v[6:7], v[0:1], off offset:2400
	;; [unrolled: 1-line block ×3, first 2 shown]
	v_addc_co_u32_e32 v11, vcc, 0, v1, vcc
	v_add_co_u32_e32 v0, vcc, 0x2000, v0
	v_add_u32_e32 v16, 0x96, v12
	s_nop 0
	v_addc_co_u32_e32 v1, vcc, 0, v1, vcc
	global_load_dwordx2 v[22:23], v[10:11], off offset:704
	global_load_dwordx2 v[24:25], v[10:11], off offset:1904
	;; [unrolled: 1-line block ×6, first 2 shown]
	v_add_u32_e32 v20, 0x12c, v12
	v_add_u32_e32 v18, 0x1c2, v12
	;; [unrolled: 1-line block ×6, first 2 shown]
	s_waitcnt vmcnt(8)
	ds_write2_b64 v36, v[2:3], v[4:5] offset1:150
	s_waitcnt vmcnt(6)
	ds_write2_b64 v0, v[6:7], v[8:9] offset0:44 offset1:194
	s_waitcnt vmcnt(4)
	ds_write2_b64 v1, v[22:23], v[24:25] offset0:88 offset1:238
	;; [unrolled: 2-line block ×4, first 2 shown]
.LBB0_13:
	s_or_b64 exec, exec, s[2:3]
	v_add_u32_e32 v4, 0x800, v36
	v_add_u32_e32 v10, 0x1000, v36
	;; [unrolled: 1-line block ×4, first 2 shown]
	s_waitcnt lgkmcnt(0)
	s_barrier
	ds_read2_b64 v[4:7], v4 offset0:44 offset1:194
	ds_read2_b64 v[22:25], v10 offset0:88 offset1:238
	;; [unrolled: 1-line block ×4, first 2 shown]
	ds_read2_b64 v[0:3], v36 offset1:150
	s_mov_b32 s2, 0x3f737871
	s_mov_b32 s8, 0x3f167918
	s_waitcnt lgkmcnt(2)
	v_pk_add_f32 v[40:41], v[22:23], v[26:27]
	s_waitcnt lgkmcnt(1)
	v_pk_add_f32 v[42:43], v[4:5], v[30:31] neg_lo:[0,1] neg_hi:[0,1]
	s_waitcnt lgkmcnt(0)
	v_pk_fma_f32 v[40:41], v[40:41], 0.5, v[0:1] op_sel_hi:[1,0,1] neg_lo:[1,0,0] neg_hi:[1,0,0]
	v_pk_mul_f32 v[44:45], v[42:43], s[2:3] op_sel_hi:[1,0]
	v_pk_add_f32 v[46:47], v[22:23], v[26:27] neg_lo:[0,1] neg_hi:[0,1]
	v_pk_add_f32 v[50:51], v[4:5], v[22:23] neg_lo:[0,1] neg_hi:[0,1]
	;; [unrolled: 1-line block ×3, first 2 shown]
	v_pk_add_f32 v[38:39], v[0:1], v[4:5]
	v_pk_mul_f32 v[48:49], v[46:47], s[8:9] op_sel_hi:[1,0]
	v_pk_add_f32 v[50:51], v[50:51], v[52:53]
	v_pk_add_f32 v[52:53], v[40:41], v[44:45] op_sel:[0,1] op_sel_hi:[1,0] neg_lo:[0,1] neg_hi:[0,1]
	v_pk_add_f32 v[40:41], v[40:41], v[44:45] op_sel:[0,1] op_sel_hi:[1,0]
	v_pk_add_f32 v[38:39], v[38:39], v[22:23]
	v_pk_add_f32 v[40:41], v[40:41], v[48:49] op_sel:[0,1] op_sel_hi:[1,0]
	v_pk_add_f32 v[44:45], v[52:53], v[48:49] op_sel:[0,1] op_sel_hi:[1,0] neg_lo:[0,1] neg_hi:[0,1]
	v_pk_add_f32 v[38:39], v[38:39], v[26:27]
	s_mov_b32 s6, 0x3e9e377a
	v_mov_b32_e32 v48, v44
	v_mov_b32_e32 v49, v41
	v_lshl_add_u32 v11, v12, 5, v36
	v_pk_add_f32 v[38:39], v[38:39], v[30:31]
	v_pk_fma_f32 v[48:49], v[50:51], s[6:7], v[48:49] op_sel_hi:[1,0,1]
	s_barrier
	ds_write2_b64 v11, v[38:39], v[48:49] offset1:1
	v_pk_add_f32 v[38:39], v[4:5], v[30:31]
	v_pk_add_f32 v[4:5], v[22:23], v[4:5] neg_lo:[0,1] neg_hi:[0,1]
	v_pk_add_f32 v[22:23], v[26:27], v[30:31] neg_lo:[0,1] neg_hi:[0,1]
	v_pk_fma_f32 v[0:1], v[38:39], 0.5, v[0:1] op_sel_hi:[1,0,1] neg_lo:[1,0,0] neg_hi:[1,0,0]
	v_pk_add_f32 v[4:5], v[4:5], v[22:23]
	v_pk_mul_f32 v[22:23], v[46:47], s[2:3] op_sel_hi:[1,0]
	v_pk_mul_f32 v[26:27], v[42:43], s[8:9] op_sel_hi:[1,0]
	v_pk_add_f32 v[30:31], v[0:1], v[22:23] op_sel:[0,1] op_sel_hi:[1,0]
	v_pk_add_f32 v[0:1], v[0:1], v[22:23] op_sel:[0,1] op_sel_hi:[1,0] neg_lo:[0,1] neg_hi:[0,1]
	v_pk_add_f32 v[22:23], v[30:31], v[26:27] op_sel:[0,1] op_sel_hi:[1,0] neg_lo:[0,1] neg_hi:[0,1]
	v_pk_add_f32 v[0:1], v[0:1], v[26:27] op_sel:[0,1] op_sel_hi:[1,0]
	v_mov_b32_e32 v26, v22
	v_mov_b32_e32 v27, v1
	;; [unrolled: 1-line block ×3, first 2 shown]
	v_pk_fma_f32 v[26:27], v[4:5], s[6:7], v[26:27] op_sel_hi:[1,0,1]
	v_pk_fma_f32 v[0:1], v[4:5], s[6:7], v[0:1] op_sel_hi:[1,0,1]
	v_mov_b32_e32 v41, v45
	ds_write2_b64 v11, v[26:27], v[0:1] offset0:2 offset1:3
	v_pk_fma_f32 v[0:1], v[50:51], s[6:7], v[40:41] op_sel_hi:[1,0,1]
	ds_write_b64 v11, v[0:1] offset:32
	v_pk_add_f32 v[0:1], v[24:25], v[28:29]
	v_pk_add_f32 v[4:5], v[6:7], v[32:33] neg_lo:[0,1] neg_hi:[0,1]
	v_pk_fma_f32 v[0:1], v[0:1], 0.5, v[2:3] op_sel_hi:[1,0,1] neg_lo:[1,0,0] neg_hi:[1,0,0]
	v_pk_mul_f32 v[22:23], v[4:5], s[2:3] op_sel_hi:[1,0]
	v_pk_add_f32 v[26:27], v[24:25], v[28:29] neg_lo:[0,1] neg_hi:[0,1]
	v_pk_add_f32 v[38:39], v[6:7], v[24:25] neg_lo:[0,1] neg_hi:[0,1]
	;; [unrolled: 1-line block ×3, first 2 shown]
	v_pk_add_f32 v[34:35], v[2:3], v[6:7]
	v_pk_mul_f32 v[30:31], v[26:27], s[8:9] op_sel_hi:[1,0]
	v_pk_add_f32 v[38:39], v[38:39], v[40:41]
	v_pk_add_f32 v[40:41], v[0:1], v[22:23] op_sel:[0,1] op_sel_hi:[1,0] neg_lo:[0,1] neg_hi:[0,1]
	v_pk_add_f32 v[0:1], v[0:1], v[22:23] op_sel:[0,1] op_sel_hi:[1,0]
	v_pk_add_f32 v[34:35], v[34:35], v[24:25]
	v_pk_add_f32 v[0:1], v[0:1], v[30:31] op_sel:[0,1] op_sel_hi:[1,0]
	v_pk_add_f32 v[22:23], v[40:41], v[30:31] op_sel:[0,1] op_sel_hi:[1,0] neg_lo:[0,1] neg_hi:[0,1]
	v_pk_add_f32 v[34:35], v[34:35], v[28:29]
	v_mov_b32_e32 v30, v22
	v_mov_b32_e32 v31, v1
	v_mad_i32_i24 v13, v16, 40, 0
	v_pk_add_f32 v[34:35], v[34:35], v[32:33]
	v_pk_fma_f32 v[30:31], v[38:39], s[6:7], v[30:31] op_sel_hi:[1,0,1]
	ds_write2_b64 v13, v[34:35], v[30:31] offset1:1
	v_pk_add_f32 v[30:31], v[6:7], v[32:33]
	v_pk_add_f32 v[6:7], v[24:25], v[6:7] neg_lo:[0,1] neg_hi:[0,1]
	v_pk_add_f32 v[24:25], v[28:29], v[32:33] neg_lo:[0,1] neg_hi:[0,1]
	v_mov_b32_e32 v1, v23
	v_pk_add_f32 v[6:7], v[6:7], v[24:25]
	v_pk_mul_f32 v[24:25], v[26:27], s[2:3] op_sel_hi:[1,0]
	v_pk_fma_f32 v[0:1], v[38:39], s[6:7], v[0:1] op_sel_hi:[1,0,1]
	s_movk_i32 s3, 0xcd
	ds_write_b64 v13, v[0:1] offset:32
	v_mul_lo_u16_sdwa v0, v12, s3 dst_sel:DWORD dst_unused:UNUSED_PAD src0_sel:BYTE_0 src1_sel:DWORD
	v_pk_fma_f32 v[2:3], v[30:31], 0.5, v[2:3] op_sel_hi:[1,0,1] neg_lo:[1,0,0] neg_hi:[1,0,0]
	v_lshrrev_b16_e32 v11, 10, v0
	v_pk_mul_f32 v[4:5], v[4:5], s[8:9] op_sel_hi:[1,0]
	v_pk_add_f32 v[26:27], v[2:3], v[24:25] op_sel:[0,1] op_sel_hi:[1,0]
	v_pk_add_f32 v[2:3], v[2:3], v[24:25] op_sel:[0,1] op_sel_hi:[1,0] neg_lo:[0,1] neg_hi:[0,1]
	v_mul_lo_u16_e32 v0, 5, v11
	v_pk_add_f32 v[2:3], v[2:3], v[4:5] op_sel:[0,1] op_sel_hi:[1,0]
	v_pk_add_f32 v[4:5], v[26:27], v[4:5] op_sel:[0,1] op_sel_hi:[1,0] neg_lo:[0,1] neg_hi:[0,1]
	v_sub_u16_e32 v21, v12, v0
	v_mov_b32_e32 v39, 9
	v_mov_b32_e32 v24, v4
	;; [unrolled: 1-line block ×4, first 2 shown]
	v_mul_u32_u24_sdwa v0, v21, v39 dst_sel:DWORD dst_unused:UNUSED_PAD src0_sel:BYTE_0 src1_sel:DWORD
	v_pk_fma_f32 v[24:25], v[6:7], s[6:7], v[24:25] op_sel_hi:[1,0,1]
	v_pk_fma_f32 v[2:3], v[6:7], s[6:7], v[2:3] op_sel_hi:[1,0,1]
	v_lshlrev_b32_e32 v4, 3, v0
	ds_write2_b64 v13, v[24:25], v[2:3] offset0:2 offset1:3
	s_waitcnt lgkmcnt(0)
	s_barrier
	global_load_dwordx4 v[0:3], v4, s[4:5]
	global_load_dwordx4 v[22:25], v4, s[4:5] offset:16
	global_load_dwordx4 v[26:29], v4, s[4:5] offset:32
	global_load_dwordx4 v[30:33], v4, s[4:5] offset:48
	global_load_dwordx2 v[34:35], v4, s[4:5] offset:64
	v_lshl_add_u32 v38, v20, 3, 0
	ds_read_b64 v[48:49], v38
	v_lshlrev_b32_e32 v17, 5, v16
	v_sub_u32_e32 v19, v13, v17
	v_lshl_add_u32 v37, v18, 3, 0
	ds_read_b64 v[4:5], v19
	ds_read_b64 v[50:51], v37
	ds_read2_b64 v[40:43], v10 offset0:88 offset1:238
	ds_read_b64 v[6:7], v36
	ds_read2_b64 v[44:47], v9 offset0:4 offset1:154
	s_mov_b32 s7, s8
	s_mov_b32 s10, 0x3f4f1bbd
	;; [unrolled: 1-line block ×3, first 2 shown]
	v_mov_b32_e32 v75, 3
	s_mov_b32 s12, s6
	s_mov_b32 s13, s2
	;; [unrolled: 1-line block ×6, first 2 shown]
	v_sub_u32_e32 v17, 0, v17
	v_cmp_gt_u32_e32 vcc, 50, v12
	s_waitcnt vmcnt(4) lgkmcnt(4)
	v_pk_mul_f32 v[52:53], v[0:1], v[4:5] op_sel:[0,1]
	s_nop 0
	v_pk_fma_f32 v[54:55], v[0:1], v[4:5], v[52:53] op_sel:[0,0,1] op_sel_hi:[1,0,0]
	v_pk_fma_f32 v[4:5], v[0:1], v[4:5], v[52:53] op_sel:[0,0,1] op_sel_hi:[1,0,0] neg_lo:[1,0,0] neg_hi:[1,0,0]
	v_pk_mul_f32 v[52:53], v[2:3], v[48:49] op_sel:[0,1]
	s_waitcnt vmcnt(2)
	v_mov_b32_e32 v4, v29
	v_pk_fma_f32 v[0:1], v[2:3], v[48:49], v[52:53] op_sel:[0,0,1] op_sel_hi:[1,1,0]
	v_pk_fma_f32 v[48:49], v[2:3], v[48:49], v[52:53] op_sel:[0,0,1] op_sel_hi:[1,0,0] neg_lo:[1,0,0] neg_hi:[1,0,0]
	s_waitcnt lgkmcnt(3)
	v_pk_mul_f32 v[2:3], v[22:23], v[50:51] op_sel:[0,1]
	v_mov_b32_e32 v1, v49
	v_pk_fma_f32 v[52:53], v[22:23], v[50:51], v[2:3] op_sel:[0,0,1] op_sel_hi:[1,1,0]
	v_pk_fma_f32 v[50:51], v[22:23], v[50:51], v[2:3] op_sel:[0,0,1] op_sel_hi:[1,0,0] neg_lo:[1,0,0] neg_hi:[1,0,0]
	s_waitcnt lgkmcnt(2)
	v_pk_mul_f32 v[22:23], v[24:25], v[40:41] op_sel:[0,1]
	v_mov_b32_e32 v55, v5
	v_pk_fma_f32 v[2:3], v[24:25], v[40:41], v[22:23] op_sel:[0,0,1] op_sel_hi:[1,1,0]
	v_pk_fma_f32 v[40:41], v[24:25], v[40:41], v[22:23] op_sel:[0,0,1] op_sel_hi:[1,0,0] neg_lo:[1,0,0] neg_hi:[1,0,0]
	ds_read2_b64 v[22:25], v8 offset0:48 offset1:198
	v_mov_b32_e32 v3, v41
	v_pk_mul_f32 v[40:41], v[26:27], v[42:43] op_sel:[0,1]
	v_mov_b32_e32 v53, v51
	v_pk_fma_f32 v[48:49], v[26:27], v[42:43], v[40:41] op_sel:[0,0,1] op_sel_hi:[1,1,0]
	v_pk_fma_f32 v[26:27], v[26:27], v[42:43], v[40:41] op_sel:[0,0,1] op_sel_hi:[1,0,0] neg_lo:[1,0,0] neg_hi:[1,0,0]
	s_waitcnt lgkmcnt(1)
	v_pk_mul_f32 v[40:41], v[44:45], v[4:5] op_sel_hi:[1,0]
	s_waitcnt vmcnt(1)
	v_mov_b32_e32 v4, v33
	v_pk_fma_f32 v[42:43], v[44:45], v[28:29], v[40:41] op_sel:[0,0,1] op_sel_hi:[1,1,0]
	v_pk_fma_f32 v[28:29], v[44:45], v[28:29], v[40:41] op_sel:[0,0,1] op_sel_hi:[1,0,0] neg_lo:[0,0,1] neg_hi:[0,0,1]
	v_mov_b32_e32 v49, v27
	v_mov_b32_e32 v43, v29
	v_pk_mul_f32 v[28:29], v[46:47], v[30:31] op_sel:[0,1]
	v_pk_add_f32 v[56:57], v[54:55], v[52:53]
	v_pk_fma_f32 v[40:41], v[46:47], v[30:31], v[28:29] op_sel:[0,0,1] op_sel_hi:[1,1,0]
	v_pk_fma_f32 v[28:29], v[46:47], v[30:31], v[28:29] op_sel:[0,0,1] op_sel_hi:[1,0,0] neg_lo:[0,0,1] neg_hi:[0,0,1]
	s_waitcnt lgkmcnt(0)
	v_pk_mul_f32 v[30:31], v[22:23], v[4:5] op_sel_hi:[1,0]
	v_mov_b32_e32 v41, v29
	v_pk_fma_f32 v[44:45], v[22:23], v[32:33], v[30:31] op_sel:[0,0,1] op_sel_hi:[1,1,0]
	v_pk_fma_f32 v[22:23], v[22:23], v[32:33], v[30:31] op_sel:[0,0,1] op_sel_hi:[1,0,0] neg_lo:[0,0,1] neg_hi:[0,0,1]
	v_mov_b32_e32 v32, v52
	v_mov_b32_e32 v45, v23
	s_waitcnt vmcnt(0)
	v_pk_mul_f32 v[22:23], v[24:25], v[34:35] op_sel:[0,1]
	v_mov_b32_e32 v28, v27
	v_pk_fma_f32 v[30:31], v[24:25], v[34:35], v[22:23] op_sel:[0,0,1] op_sel_hi:[1,1,0]
	v_pk_fma_f32 v[22:23], v[24:25], v[34:35], v[22:23] op_sel:[0,0,1] op_sel_hi:[1,0,0] neg_lo:[0,0,1] neg_hi:[0,0,1]
	v_mov_b32_e32 v33, v30
	v_mov_b32_e32 v34, v48
	;; [unrolled: 1-line block ×3, first 2 shown]
	v_pk_add_f32 v[46:47], v[32:33], v[34:35] neg_lo:[0,1] neg_hi:[0,1]
	v_mov_b32_e32 v22, v51
	v_mov_b32_e32 v4, v47
	v_pk_add_f32 v[24:25], v[48:49], v[40:41]
	v_pk_add_f32 v[46:47], v[46:47], v[4:5]
	;; [unrolled: 1-line block ×3, first 2 shown]
	v_pk_add_f32 v[48:49], v[48:49], v[40:41] neg_lo:[0,1] neg_hi:[0,1]
	v_pk_add_f32 v[26:27], v[22:23], v[28:29] neg_lo:[0,1] neg_hi:[0,1]
	v_mov_b32_e32 v31, v23
	v_mov_b32_e32 v4, v27
	;; [unrolled: 1-line block ×3, first 2 shown]
	v_pk_add_f32 v[40:41], v[56:57], v[40:41]
	v_pk_add_f32 v[26:27], v[26:27], v[4:5]
	v_pk_add_f32 v[50:51], v[0:1], v[2:3] neg_lo:[0,1] neg_hi:[0,1]
	v_pk_add_f32 v[56:57], v[44:45], v[42:43] neg_lo:[0,1] neg_hi:[0,1]
	v_fma_f32 v55, -0.5, v24, v54
	v_fma_f32 v74, -0.5, v25, v5
	v_pk_mul_f32 v[24:25], v[46:47], s[6:7]
	v_pk_add_f32 v[46:47], v[52:53], v[30:31] neg_lo:[0,1] neg_hi:[0,1]
	v_pk_add_f32 v[50:51], v[50:51], v[56:57]
	v_pk_add_f32 v[56:57], v[2:3], v[42:43]
	v_pk_add_f32 v[58:59], v[0:1], v[44:45] neg_lo:[0,1] neg_hi:[0,1]
	v_fmamk_f32 v4, v47, 0xbf737871, v55
	v_mov_b32_e32 v27, v48
	v_pk_fma_f32 v[56:57], v[56:57], 0.5, v[6:7] op_sel_hi:[1,0,1] neg_lo:[1,0,0] neg_hi:[1,0,0]
	v_pk_mul_f32 v[60:61], v[58:59], s[2:3] op_sel_hi:[1,0]
	v_sub_f32_e32 v66, v4, v25
	v_pk_mul_f32 v[26:27], v[26:27], s[6:7]
	v_fmamk_f32 v4, v46, 0x3f737871, v74
	v_pk_add_f32 v[62:63], v[56:57], v[60:61] op_sel:[0,1] op_sel_hi:[1,0] neg_lo:[0,1] neg_hi:[0,1]
	v_pk_add_f32 v[56:57], v[56:57], v[60:61] op_sel:[0,1] op_sel_hi:[1,0]
	v_pk_add_f32 v[60:61], v[2:3], v[42:43] neg_lo:[0,1] neg_hi:[0,1]
	v_add_f32_e32 v4, v27, v4
	v_pk_mul_f32 v[64:65], v[60:61], s[8:9] op_sel_hi:[1,0]
	s_mov_b32 s9, s10
	v_add_f32_e32 v4, v26, v4
	v_pk_add_f32 v[56:57], v[56:57], v[64:65] op_sel:[0,1] op_sel_hi:[1,0]
	v_pk_add_f32 v[62:63], v[62:63], v[64:65] op_sel:[0,1] op_sel_hi:[1,0] neg_lo:[0,1] neg_hi:[0,1]
	v_pk_mul_f32 v[64:65], v[4:5], s[8:9] op_sel_hi:[0,1]
	v_add_f32_e32 v4, v24, v66
	v_pk_fma_f32 v[66:67], v[4:5], s[10:11], v[64:65] neg_lo:[0,0,1] neg_hi:[0,0,1]
	v_pk_fma_f32 v[64:65], v[4:5], s[10:11], v[64:65] op_sel_hi:[0,1,1]
	v_mul_u32_u24_e32 v4, 0x190, v11
	v_lshlrev_b32_sdwa v11, v75, v21 dst_sel:DWORD dst_unused:UNUSED_PAD src0_sel:DWORD src1_sel:BYTE_0
	v_pk_add_f32 v[32:33], v[34:35], v[32:33] neg_lo:[0,1] neg_hi:[0,1]
	v_add3_u32 v11, 0, v4, v11
	v_pk_add_f32 v[40:41], v[40:41], v[30:31]
	v_pk_add_f32 v[30:31], v[52:53], v[30:31]
	v_mov_b32_e32 v4, v33
	v_pk_add_f32 v[22:23], v[28:29], v[22:23] neg_lo:[0,1] neg_hi:[0,1]
	v_pk_add_f32 v[32:33], v[32:33], v[4:5]
	v_mov_b32_e32 v21, v54
	v_fmac_f32_e32 v5, -0.5, v31
	v_mov_b32_e32 v4, v23
	v_fmac_f32_e32 v55, 0x3f737871, v47
	v_fmac_f32_e32 v21, -0.5, v30
	v_pk_add_f32 v[22:23], v[22:23], v[4:5]
	v_mov_b32_e32 v33, v47
	v_add_f32_e32 v4, v25, v55
	v_fmamk_f32 v30, v49, 0x3f737871, v21
	v_fmac_f32_e32 v21, 0xbf737871, v49
	v_pk_add_f32 v[28:29], v[0:1], v[44:45]
	v_add_f32_e32 v4, v24, v4
	v_pk_mul_f32 v[24:25], v[32:33], s[6:7]
	v_mov_b32_e32 v67, v65
	v_pk_add_f32 v[64:65], v[6:7], v[0:1]
	v_fmac_f32_e32 v74, 0xbf737871, v46
	v_mov_b32_e32 v23, v46
	v_pk_fma_f32 v[6:7], v[28:29], 0.5, v[6:7] op_sel_hi:[1,0,1] neg_lo:[1,0,0] neg_hi:[1,0,0]
	v_sub_f32_e32 v28, v30, v25
	v_add_f32_e32 v21, v25, v21
	v_fmamk_f32 v31, v48, 0xbf737871, v5
	v_add_f32_e32 v28, v24, v28
	v_add_f32_e32 v24, v24, v21
	v_sub_f32_e32 v21, v74, v27
	v_pk_mul_f32 v[22:23], v[22:23], s[6:7]
	v_add_f32_e32 v26, v26, v21
	v_add_f32_e32 v21, v23, v31
	v_pk_add_f32 v[64:65], v[64:65], v[2:3]
	v_add_f32_e32 v30, v22, v21
	v_pk_add_f32 v[0:1], v[2:3], v[0:1] neg_lo:[0,1] neg_hi:[0,1]
	v_pk_add_f32 v[2:3], v[42:43], v[44:45] neg_lo:[0,1] neg_hi:[0,1]
	s_mov_b32 s3, s6
	v_pk_add_f32 v[0:1], v[0:1], v[2:3]
	v_pk_mul_f32 v[2:3], v[30:31], s[2:3] op_sel_hi:[0,1]
	v_pk_fma_f32 v[30:31], v[28:29], s[12:13], v[2:3] neg_lo:[0,0,1] neg_hi:[0,0,1]
	v_pk_fma_f32 v[2:3], v[28:29], s[12:13], v[2:3] op_sel_hi:[0,1,1]
	v_fmac_f32_e32 v5, 0x3f737871, v48
	v_mov_b32_e32 v31, v3
	v_pk_mul_f32 v[2:3], v[60:61], s[2:3] op_sel_hi:[1,0]
	v_sub_f32_e32 v5, v5, v23
	v_pk_mul_f32 v[28:29], v[58:59], s[8:9] op_sel_hi:[1,0]
	v_pk_add_f32 v[32:33], v[6:7], v[2:3] op_sel:[0,1] op_sel_hi:[1,0]
	v_pk_add_f32 v[2:3], v[6:7], v[2:3] op_sel:[0,1] op_sel_hi:[1,0] neg_lo:[0,1] neg_hi:[0,1]
	v_add_f32_e32 v22, v22, v5
	v_pk_add_f32 v[2:3], v[2:3], v[28:29] op_sel:[0,1] op_sel_hi:[1,0]
	v_pk_add_f32 v[6:7], v[32:33], v[28:29] op_sel:[0,1] op_sel_hi:[1,0] neg_lo:[0,1] neg_hi:[0,1]
	v_mov_b32_e32 v29, v3
	v_mov_b32_e32 v28, v6
	v_pk_mul_f32 v[22:23], v[22:23], s[2:3] op_sel_hi:[0,1]
	v_mov_b32_e32 v3, v7
	v_pk_fma_f32 v[28:29], v[0:1], s[6:7], v[28:29] op_sel_hi:[1,0,1]
	v_pk_fma_f32 v[22:23], v[24:25], s[14:15], v[22:23] op_sel_hi:[0,1,1] neg_lo:[0,0,1] neg_hi:[0,0,1]
	v_pk_fma_f32 v[0:1], v[0:1], s[6:7], v[2:3] op_sel_hi:[1,0,1]
	v_pk_add_f32 v[32:33], v[28:29], v[30:31]
	v_pk_add_f32 v[2:3], v[0:1], v[22:23]
	s_barrier
	v_mov_b32_e32 v69, v57
	ds_write2_b64 v11, v[32:33], v[2:3] offset0:10 offset1:15
	v_pk_mul_f32 v[2:3], v[26:27], s[8:9] op_sel_hi:[0,1]
	v_mov_b32_e32 v57, v63
	v_pk_fma_f32 v[2:3], v[4:5], s[16:17], v[2:3] op_sel_hi:[0,1,1] neg_lo:[0,0,1] neg_hi:[0,0,1]
	v_pk_fma_f32 v[4:5], v[50:51], s[6:7], v[56:57] op_sel_hi:[1,0,1]
	v_pk_add_f32 v[0:1], v[0:1], v[22:23] neg_lo:[0,1] neg_hi:[0,1]
	v_pk_add_f32 v[6:7], v[4:5], v[2:3]
	v_pk_add_f32 v[2:3], v[4:5], v[2:3] neg_lo:[0,1] neg_hi:[0,1]
	ds_write2_b64 v11, v[0:1], v[2:3] offset0:40 offset1:45
	v_mov_b32_e32 v0, 41
	v_mul_lo_u16_sdwa v0, v12, v0 dst_sel:DWORD dst_unused:UNUSED_PAD src0_sel:BYTE_0 src1_sel:DWORD
	v_lshrrev_b16_e32 v21, 11, v0
	v_pk_add_f32 v[64:65], v[64:65], v[42:43]
	v_mul_lo_u16_e32 v0, 50, v21
	v_pk_add_f32 v[64:65], v[64:65], v[44:45]
	v_mov_b32_e32 v68, v62
	v_sub_u16_e32 v56, v12, v0
	v_pk_fma_f32 v[68:69], v[50:51], s[6:7], v[68:69] op_sel_hi:[1,0,1]
	v_pk_add_f32 v[24:25], v[64:65], v[40:41] neg_lo:[0,1] neg_hi:[0,1]
	v_mul_u32_u24_sdwa v0, v56, v39 dst_sel:DWORD dst_unused:UNUSED_PAD src0_sel:BYTE_0 src1_sel:DWORD
	v_pk_add_f32 v[70:71], v[64:65], v[40:41]
	v_pk_add_f32 v[72:73], v[68:69], v[66:67]
	ds_write2_b64 v11, v[6:7], v[24:25] offset0:20 offset1:25
	v_pk_add_f32 v[6:7], v[68:69], v[66:67] neg_lo:[0,1] neg_hi:[0,1]
	v_pk_add_f32 v[24:25], v[28:29], v[30:31] neg_lo:[0,1] neg_hi:[0,1]
	v_lshlrev_b32_e32 v0, 3, v0
	ds_write2_b64 v11, v[70:71], v[72:73] offset1:5
	ds_write2_b64 v11, v[6:7], v[24:25] offset0:30 offset1:35
	s_waitcnt lgkmcnt(0)
	s_barrier
	global_load_dwordx4 v[22:25], v0, s[4:5] offset:360
	global_load_dwordx4 v[26:29], v0, s[4:5] offset:376
	;; [unrolled: 1-line block ×4, first 2 shown]
	global_load_dwordx2 v[34:35], v0, s[4:5] offset:424
	ds_read_b64 v[4:5], v38
	ds_read_b64 v[52:53], v19
	;; [unrolled: 1-line block ×3, first 2 shown]
	ds_read2_b64 v[44:47], v10 offset0:88 offset1:238
	ds_read_b64 v[0:1], v36
	ds_read2_b64 v[48:51], v9 offset0:4 offset1:154
	v_mul_u32_u24_e32 v21, 0xfa0, v21
	s_waitcnt vmcnt(4) lgkmcnt(5)
	v_pk_mul_f32 v[6:7], v[24:25], v[4:5] op_sel:[0,1]
	s_nop 0
	v_pk_fma_f32 v[2:3], v[24:25], v[4:5], v[6:7] op_sel:[0,0,1] op_sel_hi:[1,1,0]
	v_pk_fma_f32 v[4:5], v[24:25], v[4:5], v[6:7] op_sel:[0,0,1] op_sel_hi:[1,0,0] neg_lo:[1,0,0] neg_hi:[1,0,0]
	s_waitcnt vmcnt(3) lgkmcnt(2)
	v_pk_mul_f32 v[6:7], v[28:29], v[44:45] op_sel:[0,1]
	v_mov_b32_e32 v3, v5
	v_pk_fma_f32 v[4:5], v[28:29], v[44:45], v[6:7] op_sel:[0,0,1] op_sel_hi:[1,1,0]
	v_pk_fma_f32 v[10:11], v[28:29], v[44:45], v[6:7] op_sel:[0,0,1] op_sel_hi:[1,0,0] neg_lo:[1,0,0] neg_hi:[1,0,0]
	s_waitcnt vmcnt(2)
	v_pk_mul_f32 v[6:7], v[30:31], v[46:47] op_sel:[0,1]
	v_mov_b32_e32 v5, v11
	v_pk_fma_f32 v[24:25], v[30:31], v[46:47], v[6:7] op_sel:[0,0,1] op_sel_hi:[1,1,0]
	v_pk_fma_f32 v[44:45], v[30:31], v[46:47], v[6:7] op_sel:[0,0,1] op_sel_hi:[1,0,0] neg_lo:[1,0,0] neg_hi:[1,0,0]
	v_mov_b32_e32 v6, v33
	s_waitcnt lgkmcnt(0)
	v_pk_mul_f32 v[28:29], v[48:49], v[6:7] op_sel_hi:[1,0]
	v_mov_b32_e32 v25, v45
	v_pk_fma_f32 v[6:7], v[48:49], v[32:33], v[28:29] op_sel:[0,0,1] op_sel_hi:[1,1,0]
	v_pk_fma_f32 v[32:33], v[48:49], v[32:33], v[28:29] op_sel:[0,0,1] op_sel_hi:[1,0,0] neg_lo:[0,0,1] neg_hi:[0,0,1]
	ds_read2_b64 v[28:31], v8 offset0:48 offset1:198
	v_pk_mul_f32 v[8:9], v[22:23], v[52:53] op_sel:[0,1]
	v_mov_b32_e32 v7, v33
	v_pk_fma_f32 v[32:33], v[22:23], v[52:53], v[8:9] op_sel:[0,0,1] op_sel_hi:[1,0,0]
	v_pk_fma_f32 v[22:23], v[22:23], v[52:53], v[8:9] op_sel:[0,0,1] op_sel_hi:[1,0,0] neg_lo:[1,0,0] neg_hi:[1,0,0]
	s_waitcnt vmcnt(1)
	v_mov_b32_e32 v8, v43
	s_waitcnt lgkmcnt(0)
	v_pk_mul_f32 v[10:11], v[28:29], v[8:9] op_sel_hi:[1,0]
	v_mov_b32_e32 v52, v24
	v_pk_fma_f32 v[8:9], v[28:29], v[42:43], v[10:11] op_sel:[0,0,1] op_sel_hi:[1,1,0]
	v_pk_fma_f32 v[10:11], v[28:29], v[42:43], v[10:11] op_sel:[0,0,1] op_sel_hi:[1,0,0] neg_lo:[0,0,1] neg_hi:[0,0,1]
	v_lshlrev_b32_sdwa v22, v75, v56 dst_sel:DWORD dst_unused:UNUSED_PAD src0_sel:DWORD src1_sel:BYTE_0
	v_mov_b32_e32 v9, v11
	v_pk_add_f32 v[10:11], v[2:3], v[4:5] neg_lo:[0,1] neg_hi:[0,1]
	v_pk_add_f32 v[28:29], v[8:9], v[6:7] neg_lo:[0,1] neg_hi:[0,1]
	v_add3_u32 v21, 0, v21, v22
	v_pk_add_f32 v[10:11], v[10:11], v[28:29]
	v_pk_mul_f32 v[28:29], v[26:27], v[54:55] op_sel:[0,1]
	v_mov_b32_e32 v33, v23
	v_pk_fma_f32 v[42:43], v[26:27], v[54:55], v[28:29] op_sel:[0,0,1] op_sel_hi:[1,1,0]
	v_pk_fma_f32 v[26:27], v[26:27], v[54:55], v[28:29] op_sel:[0,0,1] op_sel_hi:[1,0,0] neg_lo:[1,0,0] neg_hi:[1,0,0]
	v_pk_mul_f32 v[28:29], v[50:51], v[40:41] op_sel:[0,1]
	v_mov_b32_e32 v43, v27
	v_pk_fma_f32 v[46:47], v[50:51], v[40:41], v[28:29] op_sel:[0,0,1] op_sel_hi:[1,1,0]
	v_pk_fma_f32 v[28:29], v[50:51], v[40:41], v[28:29] op_sel:[0,0,1] op_sel_hi:[1,0,0] neg_lo:[0,0,1] neg_hi:[0,0,1]
	s_waitcnt vmcnt(0)
	v_pk_mul_f32 v[40:41], v[30:31], v[34:35] op_sel:[0,1]
	v_mov_b32_e32 v50, v42
	v_pk_fma_f32 v[48:49], v[30:31], v[34:35], v[40:41] op_sel:[0,0,1] op_sel_hi:[1,1,0]
	v_mov_b32_e32 v53, v46
	v_mov_b32_e32 v51, v48
	v_pk_add_f32 v[54:55], v[50:51], v[52:53] neg_lo:[0,1] neg_hi:[0,1]
	v_mov_b32_e32 v47, v29
	v_pk_fma_f32 v[30:31], v[30:31], v[34:35], v[40:41] op_sel:[0,0,1] op_sel_hi:[1,0,0] neg_lo:[0,0,1] neg_hi:[0,0,1]
	v_mov_b32_e32 v22, v55
	v_mov_b32_e32 v49, v31
	v_pk_add_f32 v[34:35], v[24:25], v[46:47]
	v_pk_add_f32 v[54:55], v[54:55], v[22:23]
	v_pk_add_f32 v[50:51], v[52:53], v[50:51] neg_lo:[0,1] neg_hi:[0,1]
	v_pk_add_f32 v[52:53], v[24:25], v[46:47] neg_lo:[0,1] neg_hi:[0,1]
	v_fma_f32 v28, -0.5, v34, v32
	v_pk_add_f32 v[40:41], v[42:43], v[48:49] neg_lo:[0,1] neg_hi:[0,1]
	v_mov_b32_e32 v55, v53
	v_fmamk_f32 v26, v41, 0xbf737871, v28
	v_mov_b32_e32 v22, v51
	v_pk_mul_f32 v[54:55], v[54:55], s[6:7]
	v_pk_add_f32 v[50:51], v[50:51], v[22:23]
	v_sub_f32_e32 v22, v26, v55
	v_fmac_f32_e32 v28, 0x3f737871, v41
	v_add_f32_e32 v26, v54, v22
	v_add_f32_e32 v22, v55, v28
	v_mov_b32_e32 v28, v32
	v_pk_add_f32 v[32:33], v[32:33], v[42:43]
	v_pk_add_f32 v[42:43], v[42:43], v[48:49]
	;; [unrolled: 1-line block ×3, first 2 shown]
	v_fmac_f32_e32 v28, -0.5, v42
	v_pk_add_f32 v[24:25], v[24:25], v[46:47]
	v_mov_b32_e32 v51, v41
	v_pk_add_f32 v[24:25], v[24:25], v[48:49]
	v_fmamk_f32 v30, v53, 0x3f737871, v28
	v_pk_mul_f32 v[48:49], v[50:51], s[6:7]
	v_fmac_f32_e32 v28, 0xbf737871, v53
	v_sub_f32_e32 v30, v30, v49
	v_add_f32_e32 v28, v49, v28
	v_add_f32_e32 v34, v48, v30
	;; [unrolled: 1-line block ×3, first 2 shown]
	v_mov_b32_e32 v30, v27
	v_mov_b32_e32 v28, v45
	v_pk_add_f32 v[44:45], v[30:31], v[28:29] neg_lo:[0,1] neg_hi:[0,1]
	v_pk_add_f32 v[28:29], v[28:29], v[30:31] neg_lo:[0,1] neg_hi:[0,1]
	v_mov_b32_e32 v50, v45
	v_pk_add_f32 v[44:45], v[44:45], v[50:51]
	v_pk_add_f32 v[32:33], v[4:5], v[6:7]
	v_fma_f32 v35, -0.5, v35, v23
	v_mov_b32_e32 v30, v29
	v_mov_b32_e32 v45, v52
	v_pk_fma_f32 v[32:33], v[32:33], 0.5, v[0:1] op_sel_hi:[1,0,1] neg_lo:[1,0,0] neg_hi:[1,0,0]
	v_pk_add_f32 v[46:47], v[2:3], v[8:9] neg_lo:[0,1] neg_hi:[0,1]
	v_pk_add_f32 v[28:29], v[28:29], v[30:31]
	v_fmamk_f32 v27, v40, 0x3f737871, v35
	v_pk_mul_f32 v[30:31], v[44:45], s[6:7]
	v_pk_add_f32 v[48:49], v[4:5], v[6:7] neg_lo:[0,1] neg_hi:[0,1]
	v_pk_fma_f32 v[50:51], v[46:47], s[2:3], v[32:33] op_sel:[1,0,0] op_sel_hi:[0,0,1]
	v_pk_fma_f32 v[32:33], v[46:47], s[2:3], v[32:33] op_sel:[1,0,0] op_sel_hi:[0,0,1] neg_lo:[1,0,0] neg_hi:[1,0,0]
	v_add_f32_e32 v27, v31, v27
	v_fmac_f32_e32 v35, 0xbf737871, v40
	v_pk_fma_f32 v[32:33], v[48:49], s[8:9], v[32:33] op_sel:[1,0,0] op_sel_hi:[0,0,1] neg_lo:[1,0,0] neg_hi:[1,0,0]
	v_pk_fma_f32 v[50:51], v[48:49], s[8:9], v[50:51] op_sel:[1,0,0] op_sel_hi:[0,0,1]
	v_fmac_f32_e32 v23, -0.5, v43
	v_add_f32_e32 v44, v30, v27
	v_sub_f32_e32 v27, v35, v31
	v_mov_b32_e32 v29, v40
	v_add_f32_e32 v22, v54, v22
	v_mov_b32_e32 v54, v50
	v_mov_b32_e32 v55, v33
	v_add_f32_e32 v30, v30, v27
	v_fmamk_f32 v27, v52, 0xbf737871, v23
	v_pk_mul_f32 v[28:29], v[28:29], s[6:7]
	v_fmac_f32_e32 v23, 0x3f737871, v52
	v_pk_add_f32 v[52:53], v[0:1], v[2:3]
	v_mov_b32_e32 v33, v51
	v_pk_fma_f32 v[54:55], v[10:11], s[6:7], v[54:55] op_sel_hi:[1,0,1]
	v_add_f32_e32 v27, v29, v27
	v_pk_add_f32 v[52:53], v[52:53], v[4:5]
	v_pk_fma_f32 v[10:11], v[10:11], s[6:7], v[32:33] op_sel_hi:[1,0,1]
	v_pk_mul_f32 v[32:33], v[44:45], s[8:9] op_sel_hi:[0,1]
	v_add_f32_e32 v40, v28, v27
	v_pk_add_f32 v[52:53], v[52:53], v[6:7]
	v_pk_fma_f32 v[44:45], v[26:27], s[10:11], v[32:33] neg_lo:[0,0,1] neg_hi:[0,0,1]
	v_pk_fma_f32 v[26:27], v[26:27], s[10:11], v[32:33] op_sel_hi:[0,1,1]
	v_pk_add_f32 v[52:53], v[52:53], v[8:9]
	v_mov_b32_e32 v45, v27
	v_pk_add_f32 v[56:57], v[52:53], v[24:25]
	v_pk_add_f32 v[26:27], v[10:11], v[44:45]
	s_barrier
	ds_write2_b64 v21, v[56:57], v[26:27] offset1:50
	v_pk_add_f32 v[26:27], v[2:3], v[8:9]
	v_pk_add_f32 v[2:3], v[4:5], v[2:3] neg_lo:[0,1] neg_hi:[0,1]
	v_pk_fma_f32 v[0:1], v[26:27], 0.5, v[0:1] op_sel_hi:[1,0,1] neg_lo:[1,0,0] neg_hi:[1,0,0]
	v_pk_add_f32 v[4:5], v[6:7], v[8:9] neg_lo:[0,1] neg_hi:[0,1]
	v_sub_f32_e32 v23, v23, v29
	v_pk_add_f32 v[2:3], v[2:3], v[4:5]
	v_pk_fma_f32 v[4:5], v[48:49], s[2:3], v[0:1] op_sel:[1,0,0] op_sel_hi:[0,0,1]
	v_pk_fma_f32 v[0:1], v[48:49], s[2:3], v[0:1] op_sel:[1,0,0] op_sel_hi:[0,0,1] neg_lo:[1,0,0] neg_hi:[1,0,0]
	v_add_f32_e32 v28, v28, v23
	v_pk_fma_f32 v[0:1], v[46:47], s[8:9], v[0:1] op_sel:[1,0,0] op_sel_hi:[0,0,1]
	v_pk_fma_f32 v[4:5], v[46:47], s[8:9], v[4:5] op_sel:[1,0,0] op_sel_hi:[0,0,1] neg_lo:[1,0,0] neg_hi:[1,0,0]
	v_pk_mul_f32 v[8:9], v[40:41], s[2:3] op_sel_hi:[0,1]
	v_mov_b32_e32 v6, v4
	v_mov_b32_e32 v7, v1
	v_pk_fma_f32 v[26:27], v[34:35], s[12:13], v[8:9] neg_lo:[0,0,1] neg_hi:[0,0,1]
	v_pk_fma_f32 v[8:9], v[34:35], s[12:13], v[8:9] op_sel_hi:[0,1,1]
	v_pk_mul_f32 v[28:29], v[28:29], s[2:3] op_sel_hi:[0,1]
	v_mov_b32_e32 v1, v5
	v_pk_mul_f32 v[30:31], v[30:31], s[8:9] op_sel_hi:[0,1]
	v_pk_fma_f32 v[6:7], v[2:3], s[6:7], v[6:7] op_sel_hi:[1,0,1]
	v_mov_b32_e32 v27, v9
	v_pk_fma_f32 v[28:29], v[42:43], s[14:15], v[28:29] op_sel_hi:[0,1,1] neg_lo:[0,0,1] neg_hi:[0,0,1]
	v_pk_fma_f32 v[0:1], v[2:3], s[6:7], v[0:1] op_sel_hi:[1,0,1]
	v_pk_fma_f32 v[30:31], v[22:23], s[16:17], v[30:31] op_sel_hi:[0,1,1] neg_lo:[0,0,1] neg_hi:[0,0,1]
	v_pk_add_f32 v[8:9], v[6:7], v[26:27]
	v_pk_add_f32 v[2:3], v[0:1], v[28:29]
	ds_write2_b64 v21, v[8:9], v[2:3] offset0:100 offset1:150
	v_pk_add_f32 v[2:3], v[54:55], v[30:31]
	v_pk_add_f32 v[4:5], v[52:53], v[24:25] neg_lo:[0,1] neg_hi:[0,1]
	v_pk_add_f32 v[22:23], v[54:55], v[30:31] neg_lo:[0,1] neg_hi:[0,1]
	ds_write2_b64 v21, v[2:3], v[4:5] offset0:200 offset1:250
	v_pk_add_f32 v[2:3], v[10:11], v[44:45] neg_lo:[0,1] neg_hi:[0,1]
	v_pk_add_f32 v[4:5], v[6:7], v[26:27] neg_lo:[0,1] neg_hi:[0,1]
	v_add_u32_e32 v6, 0x800, v21
	v_pk_add_f32 v[0:1], v[0:1], v[28:29] neg_lo:[0,1] neg_hi:[0,1]
	ds_write2_b64 v6, v[2:3], v[4:5] offset0:44 offset1:94
	ds_write2_b64 v6, v[0:1], v[22:23] offset0:144 offset1:194
	v_add_u32_e32 v0, 0xe00, v36
	v_add_u32_e32 v4, 0x1800, v36
	;; [unrolled: 1-line block ×3, first 2 shown]
	s_waitcnt lgkmcnt(0)
	s_barrier
	ds_read2_b64 v[0:3], v0 offset0:52 offset1:202
	ds_read2_b64 v[4:7], v4 offset0:32 offset1:232
	;; [unrolled: 1-line block ×3, first 2 shown]
	ds_read_b64 v[34:35], v36
	ds_read_b64 v[32:33], v19
	;; [unrolled: 1-line block ×3, first 2 shown]
                                        ; implicit-def: $vgpr25
                                        ; implicit-def: $vgpr26
	s_and_saveexec_b64 s[2:3], vcc
	s_cbranch_execz .LBB0_15
; %bb.14:
	ds_read_b64 v[22:23], v37
	ds_read_b64 v[24:25], v36 offset:7600
	ds_read_b64 v[26:27], v36 offset:11600
.LBB0_15:
	s_or_b64 exec, exec, s[2:3]
	v_lshlrev_b32_e32 v28, 1, v12
	v_mov_b32_e32 v29, 0
	v_lshl_add_u64 v[44:45], v[28:29], 3, s[4:5]
	v_lshlrev_b32_e32 v28, 1, v16
	v_lshl_add_u64 v[40:41], v[28:29], 3, s[4:5]
	v_lshlrev_b32_e32 v28, 1, v20
	global_load_dwordx4 v[40:43], v[40:41], off offset:3960
	v_lshl_add_u64 v[48:49], v[28:29], 3, s[4:5]
	global_load_dwordx4 v[44:47], v[44:45], off offset:3960
	s_mov_b32 s2, 0x3f5db3d7
	global_load_dwordx4 v[48:51], v[48:49], off offset:3960
	s_waitcnt lgkmcnt(0)
	s_barrier
	v_add_u32_e32 v39, v13, v17
	s_waitcnt vmcnt(2)
	v_pk_mul_f32 v[52:53], v[40:41], v[2:3] op_sel:[0,1]
	v_pk_mul_f32 v[54:55], v[42:43], v[8:9] op_sel:[0,1]
	s_waitcnt vmcnt(1)
	v_pk_mul_f32 v[56:57], v[44:45], v[0:1] op_sel:[0,1]
	v_pk_mul_f32 v[58:59], v[46:47], v[6:7] op_sel:[0,1]
	;; [unrolled: 3-line block ×3, first 2 shown]
	v_pk_fma_f32 v[64:65], v[40:41], v[2:3], v[52:53] op_sel:[0,0,1] op_sel_hi:[1,1,0]
	v_pk_fma_f32 v[2:3], v[40:41], v[2:3], v[52:53] op_sel:[0,0,1] op_sel_hi:[1,0,0] neg_lo:[1,0,0] neg_hi:[1,0,0]
	v_pk_fma_f32 v[40:41], v[42:43], v[8:9], v[54:55] op_sel:[0,0,1] op_sel_hi:[1,1,0]
	v_pk_fma_f32 v[8:9], v[42:43], v[8:9], v[54:55] op_sel:[0,0,1] op_sel_hi:[1,0,0] neg_lo:[1,0,0] neg_hi:[1,0,0]
	;; [unrolled: 2-line block ×6, first 2 shown]
	v_mov_b32_e32 v65, v3
	v_mov_b32_e32 v41, v9
	;; [unrolled: 1-line block ×6, first 2 shown]
	v_pk_add_f32 v[2:3], v[34:35], v[42:43]
	v_pk_add_f32 v[4:5], v[42:43], v[44:45]
	v_pk_add_f32 v[6:7], v[42:43], v[44:45] neg_lo:[0,1] neg_hi:[0,1]
	v_pk_add_f32 v[8:9], v[64:65], v[40:41]
	v_pk_add_f32 v[10:11], v[64:65], v[40:41] neg_lo:[0,1] neg_hi:[0,1]
	v_pk_add_f32 v[0:1], v[32:33], v[64:65]
	v_pk_add_f32 v[2:3], v[2:3], v[44:45]
	v_pk_fma_f32 v[4:5], v[4:5], 0.5, v[34:35] op_sel_hi:[1,0,1] neg_lo:[1,0,0] neg_hi:[1,0,0]
	v_pk_mul_f32 v[6:7], v[6:7], s[2:3] op_sel_hi:[1,0]
	v_pk_fma_f32 v[8:9], v[8:9], 0.5, v[32:33] op_sel_hi:[1,0,1] neg_lo:[1,0,0] neg_hi:[1,0,0]
	v_pk_mul_f32 v[10:11], v[10:11], s[2:3] op_sel_hi:[1,0]
	v_pk_add_f32 v[32:33], v[46:47], v[48:49]
	v_pk_add_f32 v[34:35], v[46:47], v[48:49] neg_lo:[0,1] neg_hi:[0,1]
	v_pk_add_f32 v[42:43], v[30:31], v[46:47]
	ds_write_b64 v36, v[2:3]
	v_pk_add_f32 v[2:3], v[4:5], v[6:7] op_sel:[0,1] op_sel_hi:[1,0] neg_lo:[0,1] neg_hi:[0,1]
	v_pk_add_f32 v[4:5], v[4:5], v[6:7] op_sel:[0,1] op_sel_hi:[1,0]
	v_pk_add_f32 v[6:7], v[8:9], v[10:11] op_sel:[0,1] op_sel_hi:[1,0] neg_lo:[0,1] neg_hi:[0,1]
	v_pk_add_f32 v[8:9], v[8:9], v[10:11] op_sel:[0,1] op_sel_hi:[1,0]
	v_pk_fma_f32 v[10:11], v[32:33], 0.5, v[30:31] op_sel_hi:[1,0,1] neg_lo:[1,0,0] neg_hi:[1,0,0]
	v_pk_mul_f32 v[30:31], v[34:35], s[2:3] op_sel_hi:[1,0]
	v_pk_add_f32 v[0:1], v[0:1], v[40:41]
	v_mov_b32_e32 v32, v2
	v_mov_b32_e32 v33, v5
	v_mov_b32_e32 v5, v3
	v_mov_b32_e32 v2, v6
	v_mov_b32_e32 v3, v9
	v_mov_b32_e32 v9, v7
	v_pk_add_f32 v[6:7], v[10:11], v[30:31] op_sel:[0,1] op_sel_hi:[1,0] neg_lo:[0,1] neg_hi:[0,1]
	v_pk_add_f32 v[10:11], v[10:11], v[30:31] op_sel:[0,1] op_sel_hi:[1,0]
	v_pk_add_f32 v[40:41], v[42:43], v[48:49]
	ds_write_b64 v36, v[32:33] offset:4000
	ds_write_b64 v36, v[4:5] offset:8000
	ds_write_b64 v39, v[0:1]
	ds_write_b64 v39, v[2:3] offset:4000
	ds_write_b64 v39, v[8:9] offset:8000
	ds_write_b64 v38, v[40:41]
	v_mov_b32_e32 v0, v6
	v_mov_b32_e32 v1, v11
	;; [unrolled: 1-line block ×3, first 2 shown]
	ds_write_b64 v38, v[0:1] offset:4000
	ds_write_b64 v38, v[10:11] offset:8000
	s_and_saveexec_b64 s[6:7], vcc
	s_cbranch_execz .LBB0_17
; %bb.16:
	v_subrev_u32_e32 v0, 50, v12
	v_cndmask_b32_e32 v0, v0, v18, vcc
	v_lshlrev_b32_e32 v28, 1, v0
	v_lshl_add_u64 v[0:1], v[28:29], 3, s[4:5]
	global_load_dwordx4 v[0:3], v[0:1], off offset:3960
	v_mov_b32_e32 v4, v25
	v_mov_b32_e32 v6, v27
	s_waitcnt vmcnt(0)
	v_pk_mul_f32 v[4:5], v[4:5], v[0:1] op_sel_hi:[0,1]
	v_pk_mul_f32 v[6:7], v[6:7], v[2:3] op_sel_hi:[0,1]
	v_pk_fma_f32 v[8:9], v[24:25], v[0:1], v[4:5] op_sel:[0,0,1] op_sel_hi:[1,1,0]
	v_pk_fma_f32 v[0:1], v[24:25], v[0:1], v[4:5] op_sel:[0,0,1] op_sel_hi:[0,1,0] neg_lo:[1,0,0] neg_hi:[1,0,0]
	v_pk_fma_f32 v[4:5], v[26:27], v[2:3], v[6:7] op_sel:[0,0,1] op_sel_hi:[1,1,0]
	v_pk_fma_f32 v[2:3], v[26:27], v[2:3], v[6:7] op_sel:[0,0,1] op_sel_hi:[0,1,0] neg_lo:[1,0,0] neg_hi:[1,0,0]
	v_mov_b32_e32 v9, v1
	v_mov_b32_e32 v5, v3
	v_pk_add_f32 v[0:1], v[22:23], v[8:9]
	v_pk_add_f32 v[2:3], v[8:9], v[4:5]
	v_pk_add_f32 v[6:7], v[8:9], v[4:5] neg_lo:[0,1] neg_hi:[0,1]
	v_pk_add_f32 v[0:1], v[0:1], v[4:5]
	v_pk_fma_f32 v[2:3], -0.5, v[2:3], v[22:23] op_sel_hi:[0,1,1]
	v_pk_mul_f32 v[4:5], v[6:7], s[2:3] op_sel_hi:[1,0]
	ds_write_b64 v36, v[0:1] offset:3600
	v_pk_add_f32 v[0:1], v[2:3], v[4:5] op_sel:[0,1] op_sel_hi:[1,0] neg_lo:[0,1] neg_hi:[0,1]
	v_pk_add_f32 v[2:3], v[2:3], v[4:5] op_sel:[0,1] op_sel_hi:[1,0]
	v_mov_b32_e32 v4, v0
	v_mov_b32_e32 v5, v3
	;; [unrolled: 1-line block ×3, first 2 shown]
	ds_write_b64 v36, v[4:5] offset:7600
	ds_write_b64 v36, v[2:3] offset:11600
.LBB0_17:
	s_or_b64 exec, exec, s[6:7]
	s_waitcnt lgkmcnt(0)
	s_barrier
	ds_read_b64 v[4:5], v36
	s_add_u32 s2, s4, 0x2eb8
	v_lshlrev_b32_e32 v0, 3, v12
	s_addc_u32 s3, s5, 0
	v_sub_u32_e32 v6, 0, v0
	v_cmp_ne_u32_e32 vcc, 0, v12
                                        ; implicit-def: $vgpr3
                                        ; implicit-def: $vgpr0_vgpr1
	s_and_saveexec_b64 s[4:5], vcc
	s_xor_b64 s[4:5], exec, s[4:5]
	s_cbranch_execz .LBB0_19
; %bb.18:
	v_mov_b32_e32 v13, 0
	v_lshl_add_u64 v[0:1], v[12:13], 3, s[2:3]
	global_load_dwordx2 v[0:1], v[0:1], off
	ds_read_b64 v[2:3], v6 offset:12000
	v_mov_b32_e32 v9, 0.5
	v_mov_b32_e32 v10, v9
	s_waitcnt lgkmcnt(0)
	v_pk_add_f32 v[22:23], v[2:3], v[4:5]
	v_pk_add_f32 v[2:3], v[4:5], v[2:3] neg_lo:[0,1] neg_hi:[0,1]
	v_mov_b32_e32 v4, v23
	v_mov_b32_e32 v5, v2
	v_pk_mul_f32 v[4:5], v[4:5], 0.5 op_sel_hi:[1,0]
	s_waitcnt vmcnt(0)
	v_mov_b32_e32 v8, v1
	v_mov_b32_e32 v2, v5
	;; [unrolled: 1-line block ×4, first 2 shown]
	v_pk_mul_f32 v[2:3], v[8:9], v[2:3]
	v_pk_mul_f32 v[24:25], v[0:1], v[4:5] op_sel_hi:[0,1]
	v_pk_fma_f32 v[8:9], v[22:23], v[10:11], v[2:3]
	v_pk_fma_f32 v[10:11], v[22:23], v[10:11], v[2:3] neg_lo:[0,0,1] neg_hi:[0,0,1]
	v_pk_fma_f32 v[2:3], v[0:1], v[4:5], v[8:9] op_sel_hi:[0,1,1] neg_lo:[1,0,0] neg_hi:[1,0,0]
	v_pk_fma_f32 v[0:1], v[0:1], v[4:5], v[10:11] op_sel_hi:[0,1,1] neg_lo:[1,0,0] neg_hi:[1,0,0]
	v_add_f32_e32 v2, v8, v24
                                        ; implicit-def: $vgpr4_vgpr5
.LBB0_19:
	s_andn2_saveexec_b64 s[4:5], s[4:5]
	s_cbranch_execz .LBB0_21
; %bb.20:
	s_waitcnt lgkmcnt(0)
	v_mov_b32_e32 v0, v5
	v_pk_add_f32 v[0:1], v[4:5], v[0:1] neg_lo:[0,1] neg_hi:[0,1]
	v_add_f32_e32 v2, v5, v4
	v_mov_b32_e32 v1, 0
	ds_read_b32 v3, v1 offset:6004
	s_waitcnt lgkmcnt(0)
	v_xor_b32_e32 v3, 0x80000000, v3
	ds_write_b32 v1, v3 offset:6004
	v_mov_b32_e32 v3, v1
.LBB0_21:
	s_or_b64 exec, exec, s[4:5]
	v_mov_b32_e32 v17, 0
	s_waitcnt lgkmcnt(0)
	v_lshl_add_u64 v[4:5], v[16:17], 3, s[2:3]
	global_load_dwordx2 v[4:5], v[4:5], off
	v_mov_b32_e32 v21, v17
	v_lshl_add_u64 v[8:9], v[20:21], 3, s[2:3]
	global_load_dwordx2 v[8:9], v[8:9], off
	v_mov_b32_e32 v19, v17
	v_lshl_add_u64 v[10:11], v[18:19], 3, s[2:3]
	global_load_dwordx2 v[10:11], v[10:11], off
	v_add_u32_e32 v16, 0x258, v12
	v_lshl_add_u64 v[18:19], v[16:17], 3, s[2:3]
	global_load_dwordx2 v[18:19], v[18:19], off
	ds_write_b64 v36, v[2:3]
	ds_write_b64 v6, v[0:1] offset:12000
	ds_read_b64 v[0:1], v39
	ds_read_b64 v[2:3], v6 offset:10800
	v_mov_b32_e32 v21, 0.5
	v_mov_b32_e32 v22, v21
	s_waitcnt lgkmcnt(0)
	v_pk_add_f32 v[24:25], v[0:1], v[2:3]
	v_pk_add_f32 v[0:1], v[0:1], v[2:3] neg_lo:[0,1] neg_hi:[0,1]
	v_mov_b32_e32 v2, v25
	v_mov_b32_e32 v3, v0
	v_pk_mul_f32 v[2:3], v[2:3], 0.5 op_sel_hi:[1,0]
	s_waitcnt vmcnt(3)
	v_mov_b32_e32 v23, v5
	v_mov_b32_e32 v25, v2
	;; [unrolled: 1-line block ×4, first 2 shown]
	v_pk_mul_f32 v[22:23], v[24:25], v[22:23]
	s_nop 0
	v_pk_fma_f32 v[24:25], v[20:21], v[0:1], v[22:23] neg_lo:[1,0,0] neg_hi:[1,0,0]
	v_pk_fma_f32 v[0:1], v[20:21], v[0:1], v[22:23]
	v_pk_fma_f32 v[22:23], v[4:5], v[2:3], v[24:25] op_sel_hi:[0,1,1] neg_lo:[1,0,0] neg_hi:[1,0,0]
	v_pk_fma_f32 v[24:25], v[4:5], v[2:3], v[0:1] op_sel_hi:[0,1,1]
	v_pk_fma_f32 v[0:1], v[4:5], v[2:3], v[0:1] op_sel_hi:[0,1,1] neg_lo:[1,0,0] neg_hi:[1,0,0]
	v_mov_b32_e32 v25, v1
	ds_write_b64 v39, v[24:25]
	ds_write_b64 v6, v[22:23] offset:10800
	ds_read_b64 v[0:1], v38
	ds_read_b64 v[2:3], v6 offset:9600
	v_mov_b32_e32 v4, v21
	s_waitcnt vmcnt(2)
	v_mov_b32_e32 v5, v9
	v_mov_b32_e32 v20, v9
	s_waitcnt lgkmcnt(0)
	v_pk_add_f32 v[22:23], v[0:1], v[2:3]
	v_pk_add_f32 v[0:1], v[0:1], v[2:3] neg_lo:[0,1] neg_hi:[0,1]
	v_mov_b32_e32 v2, v23
	v_mov_b32_e32 v3, v0
	v_pk_mul_f32 v[2:3], v[2:3], 0.5 op_sel_hi:[1,0]
	s_nop 0
	v_mov_b32_e32 v23, v2
	v_mov_b32_e32 v0, v3
	v_pk_mul_f32 v[4:5], v[22:23], v[4:5]
	s_nop 0
	v_pk_fma_f32 v[22:23], v[20:21], v[0:1], v[4:5] neg_lo:[1,0,0] neg_hi:[1,0,0]
	v_pk_fma_f32 v[0:1], v[20:21], v[0:1], v[4:5]
	v_pk_fma_f32 v[4:5], v[8:9], v[2:3], v[22:23] op_sel_hi:[0,1,1] neg_lo:[1,0,0] neg_hi:[1,0,0]
	v_pk_fma_f32 v[22:23], v[8:9], v[2:3], v[0:1] op_sel_hi:[0,1,1]
	v_pk_fma_f32 v[0:1], v[8:9], v[2:3], v[0:1] op_sel_hi:[0,1,1] neg_lo:[1,0,0] neg_hi:[1,0,0]
	v_mov_b32_e32 v23, v1
	ds_write_b64 v38, v[22:23]
	ds_write_b64 v6, v[4:5] offset:9600
	ds_read_b64 v[0:1], v37
	ds_read_b64 v[2:3], v6 offset:8400
	v_mov_b32_e32 v4, v21
	s_waitcnt vmcnt(1)
	v_mov_b32_e32 v5, v11
	v_mov_b32_e32 v20, v11
	s_waitcnt lgkmcnt(0)
	v_pk_add_f32 v[8:9], v[0:1], v[2:3]
	v_pk_add_f32 v[0:1], v[0:1], v[2:3] neg_lo:[0,1] neg_hi:[0,1]
	v_mov_b32_e32 v2, v9
	v_mov_b32_e32 v3, v0
	v_pk_mul_f32 v[2:3], v[2:3], 0.5 op_sel_hi:[1,0]
	s_nop 0
	v_mov_b32_e32 v9, v2
	v_mov_b32_e32 v0, v3
	v_pk_mul_f32 v[4:5], v[8:9], v[4:5]
	s_nop 0
	v_pk_fma_f32 v[8:9], v[20:21], v[0:1], v[4:5] neg_lo:[1,0,0] neg_hi:[1,0,0]
	v_pk_fma_f32 v[0:1], v[20:21], v[0:1], v[4:5]
	v_pk_fma_f32 v[4:5], v[10:11], v[2:3], v[8:9] op_sel_hi:[0,1,1] neg_lo:[1,0,0] neg_hi:[1,0,0]
	v_pk_fma_f32 v[8:9], v[10:11], v[2:3], v[0:1] op_sel_hi:[0,1,1]
	v_pk_fma_f32 v[0:1], v[10:11], v[2:3], v[0:1] op_sel_hi:[0,1,1] neg_lo:[1,0,0] neg_hi:[1,0,0]
	v_mov_b32_e32 v9, v1
	ds_write_b64 v37, v[8:9]
	ds_write_b64 v6, v[4:5] offset:8400
	ds_read_b64 v[0:1], v36 offset:4800
	ds_read_b64 v[2:3], v6 offset:7200
	v_mov_b32_e32 v4, v21
	s_waitcnt vmcnt(0)
	v_mov_b32_e32 v5, v19
	v_mov_b32_e32 v20, v19
	s_waitcnt lgkmcnt(0)
	v_pk_add_f32 v[8:9], v[0:1], v[2:3]
	v_pk_add_f32 v[0:1], v[0:1], v[2:3] neg_lo:[0,1] neg_hi:[0,1]
	v_mov_b32_e32 v2, v9
	v_mov_b32_e32 v3, v0
	v_pk_mul_f32 v[2:3], v[2:3], 0.5 op_sel_hi:[1,0]
	s_nop 0
	v_mov_b32_e32 v9, v2
	v_mov_b32_e32 v0, v3
	v_pk_mul_f32 v[4:5], v[8:9], v[4:5]
	s_nop 0
	v_pk_fma_f32 v[8:9], v[20:21], v[0:1], v[4:5] neg_lo:[1,0,0] neg_hi:[1,0,0]
	v_pk_fma_f32 v[0:1], v[20:21], v[0:1], v[4:5]
	v_pk_fma_f32 v[4:5], v[18:19], v[2:3], v[8:9] op_sel_hi:[0,1,1] neg_lo:[1,0,0] neg_hi:[1,0,0]
	v_pk_fma_f32 v[8:9], v[18:19], v[2:3], v[0:1] op_sel_hi:[0,1,1]
	v_pk_fma_f32 v[0:1], v[18:19], v[2:3], v[0:1] op_sel_hi:[0,1,1] neg_lo:[1,0,0] neg_hi:[1,0,0]
	v_mov_b32_e32 v9, v1
	ds_write_b64 v36, v[8:9] offset:4800
	ds_write_b64 v6, v[4:5] offset:7200
	s_waitcnt lgkmcnt(0)
	s_barrier
	s_and_saveexec_b64 s[2:3], s[0:1]
	s_cbranch_execz .LBB0_24
; %bb.22:
	ds_read2_b64 v[0:3], v36 offset1:150
	v_add_u32_e32 v4, 0x800, v36
	ds_read2_b64 v[4:7], v4 offset0:44 offset1:194
	v_mov_b32_e32 v13, v17
	v_lshl_add_u64 v[8:9], v[12:13], 3, v[14:15]
	s_waitcnt lgkmcnt(1)
	global_store_dwordx2 v[8:9], v[0:1], off
	global_store_dwordx2 v[8:9], v[2:3], off offset:1200
	s_waitcnt lgkmcnt(0)
	global_store_dwordx2 v[8:9], v[4:5], off offset:2400
	global_store_dwordx2 v[8:9], v[6:7], off offset:3600
	v_add_u32_e32 v0, 0x1000, v36
	ds_read2_b64 v[0:3], v0 offset0:88 offset1:238
	v_add_u32_e32 v4, 0x1c00, v36
	ds_read2_b64 v[4:7], v4 offset0:4 offset1:154
	v_add_co_u32_e32 v10, vcc, 0x1000, v8
	s_movk_i32 s0, 0x95
	s_nop 0
	v_addc_co_u32_e32 v11, vcc, 0, v9, vcc
	s_waitcnt lgkmcnt(1)
	global_store_dwordx2 v[10:11], v[0:1], off offset:704
	global_store_dwordx2 v[10:11], v[2:3], off offset:1904
	s_waitcnt lgkmcnt(0)
	global_store_dwordx2 v[10:11], v[4:5], off offset:3104
	v_add_u32_e32 v0, 0x2400, v36
	ds_read2_b64 v[0:3], v0 offset0:48 offset1:198
	v_add_co_u32_e32 v4, vcc, 0x2000, v8
	s_nop 1
	v_addc_co_u32_e32 v5, vcc, 0, v9, vcc
	v_cmp_eq_u32_e32 vcc, s0, v12
	global_store_dwordx2 v[4:5], v[6:7], off offset:208
	s_waitcnt lgkmcnt(0)
	global_store_dwordx2 v[4:5], v[0:1], off offset:1408
	global_store_dwordx2 v[4:5], v[2:3], off offset:2608
	s_and_b64 exec, exec, vcc
	s_cbranch_execz .LBB0_24
; %bb.23:
	v_mov_b32_e32 v0, 0
	ds_read_b64 v[0:1], v0 offset:12000
	v_add_co_u32_e32 v2, vcc, 0x2000, v14
	s_nop 1
	v_addc_co_u32_e32 v3, vcc, 0, v15, vcc
	s_waitcnt lgkmcnt(0)
	global_store_dwordx2 v[2:3], v[0:1], off offset:3808
.LBB0_24:
	s_endpgm
	.section	.rodata,"a",@progbits
	.p2align	6, 0x0
	.amdhsa_kernel fft_rtc_back_len1500_factors_5_10_10_3_wgs_150_tpt_150_halfLds_sp_ip_CI_unitstride_sbrr_R2C_dirReg
		.amdhsa_group_segment_fixed_size 0
		.amdhsa_private_segment_fixed_size 0
		.amdhsa_kernarg_size 88
		.amdhsa_user_sgpr_count 2
		.amdhsa_user_sgpr_dispatch_ptr 0
		.amdhsa_user_sgpr_queue_ptr 0
		.amdhsa_user_sgpr_kernarg_segment_ptr 1
		.amdhsa_user_sgpr_dispatch_id 0
		.amdhsa_user_sgpr_kernarg_preload_length 0
		.amdhsa_user_sgpr_kernarg_preload_offset 0
		.amdhsa_user_sgpr_private_segment_size 0
		.amdhsa_uses_dynamic_stack 0
		.amdhsa_enable_private_segment 0
		.amdhsa_system_sgpr_workgroup_id_x 1
		.amdhsa_system_sgpr_workgroup_id_y 0
		.amdhsa_system_sgpr_workgroup_id_z 0
		.amdhsa_system_sgpr_workgroup_info 0
		.amdhsa_system_vgpr_workitem_id 0
		.amdhsa_next_free_vgpr 76
		.amdhsa_next_free_sgpr 22
		.amdhsa_accum_offset 76
		.amdhsa_reserve_vcc 1
		.amdhsa_float_round_mode_32 0
		.amdhsa_float_round_mode_16_64 0
		.amdhsa_float_denorm_mode_32 3
		.amdhsa_float_denorm_mode_16_64 3
		.amdhsa_dx10_clamp 1
		.amdhsa_ieee_mode 1
		.amdhsa_fp16_overflow 0
		.amdhsa_tg_split 0
		.amdhsa_exception_fp_ieee_invalid_op 0
		.amdhsa_exception_fp_denorm_src 0
		.amdhsa_exception_fp_ieee_div_zero 0
		.amdhsa_exception_fp_ieee_overflow 0
		.amdhsa_exception_fp_ieee_underflow 0
		.amdhsa_exception_fp_ieee_inexact 0
		.amdhsa_exception_int_div_zero 0
	.end_amdhsa_kernel
	.text
.Lfunc_end0:
	.size	fft_rtc_back_len1500_factors_5_10_10_3_wgs_150_tpt_150_halfLds_sp_ip_CI_unitstride_sbrr_R2C_dirReg, .Lfunc_end0-fft_rtc_back_len1500_factors_5_10_10_3_wgs_150_tpt_150_halfLds_sp_ip_CI_unitstride_sbrr_R2C_dirReg
                                        ; -- End function
	.section	.AMDGPU.csdata,"",@progbits
; Kernel info:
; codeLenInByte = 7108
; NumSgprs: 28
; NumVgprs: 76
; NumAgprs: 0
; TotalNumVgprs: 76
; ScratchSize: 0
; MemoryBound: 0
; FloatMode: 240
; IeeeMode: 1
; LDSByteSize: 0 bytes/workgroup (compile time only)
; SGPRBlocks: 3
; VGPRBlocks: 9
; NumSGPRsForWavesPerEU: 28
; NumVGPRsForWavesPerEU: 76
; AccumOffset: 76
; Occupancy: 6
; WaveLimiterHint : 1
; COMPUTE_PGM_RSRC2:SCRATCH_EN: 0
; COMPUTE_PGM_RSRC2:USER_SGPR: 2
; COMPUTE_PGM_RSRC2:TRAP_HANDLER: 0
; COMPUTE_PGM_RSRC2:TGID_X_EN: 1
; COMPUTE_PGM_RSRC2:TGID_Y_EN: 0
; COMPUTE_PGM_RSRC2:TGID_Z_EN: 0
; COMPUTE_PGM_RSRC2:TIDIG_COMP_CNT: 0
; COMPUTE_PGM_RSRC3_GFX90A:ACCUM_OFFSET: 18
; COMPUTE_PGM_RSRC3_GFX90A:TG_SPLIT: 0
	.text
	.p2alignl 6, 3212836864
	.fill 256, 4, 3212836864
	.type	__hip_cuid_17750c3f57c1d29d,@object ; @__hip_cuid_17750c3f57c1d29d
	.section	.bss,"aw",@nobits
	.globl	__hip_cuid_17750c3f57c1d29d
__hip_cuid_17750c3f57c1d29d:
	.byte	0                               ; 0x0
	.size	__hip_cuid_17750c3f57c1d29d, 1

	.ident	"AMD clang version 19.0.0git (https://github.com/RadeonOpenCompute/llvm-project roc-6.4.0 25133 c7fe45cf4b819c5991fe208aaa96edf142730f1d)"
	.section	".note.GNU-stack","",@progbits
	.addrsig
	.addrsig_sym __hip_cuid_17750c3f57c1d29d
	.amdgpu_metadata
---
amdhsa.kernels:
  - .agpr_count:     0
    .args:
      - .actual_access:  read_only
        .address_space:  global
        .offset:         0
        .size:           8
        .value_kind:     global_buffer
      - .offset:         8
        .size:           8
        .value_kind:     by_value
      - .actual_access:  read_only
        .address_space:  global
        .offset:         16
        .size:           8
        .value_kind:     global_buffer
      - .actual_access:  read_only
        .address_space:  global
        .offset:         24
        .size:           8
        .value_kind:     global_buffer
      - .offset:         32
        .size:           8
        .value_kind:     by_value
      - .actual_access:  read_only
        .address_space:  global
        .offset:         40
        .size:           8
        .value_kind:     global_buffer
      - .actual_access:  read_only
        .address_space:  global
        .offset:         48
        .size:           8
        .value_kind:     global_buffer
      - .offset:         56
        .size:           4
        .value_kind:     by_value
      - .actual_access:  read_only
        .address_space:  global
        .offset:         64
        .size:           8
        .value_kind:     global_buffer
      - .actual_access:  read_only
        .address_space:  global
        .offset:         72
        .size:           8
        .value_kind:     global_buffer
      - .address_space:  global
        .offset:         80
        .size:           8
        .value_kind:     global_buffer
    .group_segment_fixed_size: 0
    .kernarg_segment_align: 8
    .kernarg_segment_size: 88
    .language:       OpenCL C
    .language_version:
      - 2
      - 0
    .max_flat_workgroup_size: 150
    .name:           fft_rtc_back_len1500_factors_5_10_10_3_wgs_150_tpt_150_halfLds_sp_ip_CI_unitstride_sbrr_R2C_dirReg
    .private_segment_fixed_size: 0
    .sgpr_count:     28
    .sgpr_spill_count: 0
    .symbol:         fft_rtc_back_len1500_factors_5_10_10_3_wgs_150_tpt_150_halfLds_sp_ip_CI_unitstride_sbrr_R2C_dirReg.kd
    .uniform_work_group_size: 1
    .uses_dynamic_stack: false
    .vgpr_count:     76
    .vgpr_spill_count: 0
    .wavefront_size: 64
amdhsa.target:   amdgcn-amd-amdhsa--gfx950
amdhsa.version:
  - 1
  - 2
...

	.end_amdgpu_metadata
